;; amdgpu-corpus repo=ROCm/rocFFT kind=compiled arch=gfx1030 opt=O3
	.text
	.amdgcn_target "amdgcn-amd-amdhsa--gfx1030"
	.amdhsa_code_object_version 6
	.protected	fft_rtc_back_len850_factors_10_5_17_wgs_85_tpt_85_half_ip_CI_unitstride_sbrr_R2C_dirReg ; -- Begin function fft_rtc_back_len850_factors_10_5_17_wgs_85_tpt_85_half_ip_CI_unitstride_sbrr_R2C_dirReg
	.globl	fft_rtc_back_len850_factors_10_5_17_wgs_85_tpt_85_half_ip_CI_unitstride_sbrr_R2C_dirReg
	.p2align	8
	.type	fft_rtc_back_len850_factors_10_5_17_wgs_85_tpt_85_half_ip_CI_unitstride_sbrr_R2C_dirReg,@function
fft_rtc_back_len850_factors_10_5_17_wgs_85_tpt_85_half_ip_CI_unitstride_sbrr_R2C_dirReg: ; @fft_rtc_back_len850_factors_10_5_17_wgs_85_tpt_85_half_ip_CI_unitstride_sbrr_R2C_dirReg
; %bb.0:
	s_mov_b64 s[26:27], s[2:3]
	s_mov_b64 s[24:25], s[0:1]
	s_clause 0x2
	s_load_dwordx4 s[8:11], s[4:5], 0x0
	s_load_dwordx2 s[2:3], s[4:5], 0x50
	s_load_dwordx2 s[12:13], s[4:5], 0x18
	v_mul_u32_u24_e32 v1, 0x304, v0
	v_mov_b32_e32 v3, 0
	s_add_u32 s24, s24, s7
	s_addc_u32 s25, s25, 0
	v_add_nc_u32_sdwa v5, s6, v1 dst_sel:DWORD dst_unused:UNUSED_PAD src0_sel:DWORD src1_sel:WORD_1
	v_mov_b32_e32 v1, 0
	v_mov_b32_e32 v6, v3
	;; [unrolled: 1-line block ×3, first 2 shown]
	s_waitcnt lgkmcnt(0)
	v_cmp_lt_u64_e64 s0, s[10:11], 2
	s_and_b32 vcc_lo, exec_lo, s0
	s_cbranch_vccnz .LBB0_8
; %bb.1:
	s_load_dwordx2 s[0:1], s[4:5], 0x10
	v_mov_b32_e32 v1, 0
	s_add_u32 s6, s12, 8
	v_mov_b32_e32 v2, 0
	s_addc_u32 s7, s13, 0
	s_mov_b64 s[16:17], 1
	s_waitcnt lgkmcnt(0)
	s_add_u32 s14, s0, 8
	s_addc_u32 s15, s1, 0
.LBB0_2:                                ; =>This Inner Loop Header: Depth=1
	s_load_dwordx2 s[18:19], s[14:15], 0x0
                                        ; implicit-def: $vgpr7_vgpr8
	s_mov_b32 s0, exec_lo
	s_waitcnt lgkmcnt(0)
	v_or_b32_e32 v4, s19, v6
	v_cmpx_ne_u64_e32 0, v[3:4]
	s_xor_b32 s1, exec_lo, s0
	s_cbranch_execz .LBB0_4
; %bb.3:                                ;   in Loop: Header=BB0_2 Depth=1
	v_cvt_f32_u32_e32 v4, s18
	v_cvt_f32_u32_e32 v7, s19
	s_sub_u32 s0, 0, s18
	s_subb_u32 s20, 0, s19
	v_fmac_f32_e32 v4, 0x4f800000, v7
	v_rcp_f32_e32 v4, v4
	v_mul_f32_e32 v4, 0x5f7ffffc, v4
	v_mul_f32_e32 v7, 0x2f800000, v4
	v_trunc_f32_e32 v7, v7
	v_fmac_f32_e32 v4, 0xcf800000, v7
	v_cvt_u32_f32_e32 v7, v7
	v_cvt_u32_f32_e32 v4, v4
	v_mul_lo_u32 v8, s0, v7
	v_mul_hi_u32 v9, s0, v4
	v_mul_lo_u32 v10, s20, v4
	v_add_nc_u32_e32 v8, v9, v8
	v_mul_lo_u32 v9, s0, v4
	v_add_nc_u32_e32 v8, v8, v10
	v_mul_hi_u32 v10, v4, v9
	v_mul_lo_u32 v11, v4, v8
	v_mul_hi_u32 v12, v4, v8
	v_mul_hi_u32 v13, v7, v9
	v_mul_lo_u32 v9, v7, v9
	v_mul_hi_u32 v14, v7, v8
	v_mul_lo_u32 v8, v7, v8
	v_add_co_u32 v10, vcc_lo, v10, v11
	v_add_co_ci_u32_e32 v11, vcc_lo, 0, v12, vcc_lo
	v_add_co_u32 v9, vcc_lo, v10, v9
	v_add_co_ci_u32_e32 v9, vcc_lo, v11, v13, vcc_lo
	v_add_co_ci_u32_e32 v10, vcc_lo, 0, v14, vcc_lo
	v_add_co_u32 v8, vcc_lo, v9, v8
	v_add_co_ci_u32_e32 v9, vcc_lo, 0, v10, vcc_lo
	v_add_co_u32 v4, vcc_lo, v4, v8
	v_add_co_ci_u32_e32 v7, vcc_lo, v7, v9, vcc_lo
	v_mul_hi_u32 v8, s0, v4
	v_mul_lo_u32 v10, s20, v4
	v_mul_lo_u32 v9, s0, v7
	v_add_nc_u32_e32 v8, v8, v9
	v_mul_lo_u32 v9, s0, v4
	v_add_nc_u32_e32 v8, v8, v10
	v_mul_hi_u32 v10, v4, v9
	v_mul_lo_u32 v11, v4, v8
	v_mul_hi_u32 v12, v4, v8
	v_mul_hi_u32 v13, v7, v9
	v_mul_lo_u32 v9, v7, v9
	v_mul_hi_u32 v14, v7, v8
	v_mul_lo_u32 v8, v7, v8
	v_add_co_u32 v10, vcc_lo, v10, v11
	v_add_co_ci_u32_e32 v11, vcc_lo, 0, v12, vcc_lo
	v_add_co_u32 v9, vcc_lo, v10, v9
	v_add_co_ci_u32_e32 v9, vcc_lo, v11, v13, vcc_lo
	v_add_co_ci_u32_e32 v10, vcc_lo, 0, v14, vcc_lo
	v_add_co_u32 v8, vcc_lo, v9, v8
	v_add_co_ci_u32_e32 v9, vcc_lo, 0, v10, vcc_lo
	v_add_co_u32 v4, vcc_lo, v4, v8
	v_add_co_ci_u32_e32 v11, vcc_lo, v7, v9, vcc_lo
	v_mul_hi_u32 v13, v5, v4
	v_mad_u64_u32 v[9:10], null, v6, v4, 0
	v_mad_u64_u32 v[7:8], null, v5, v11, 0
	;; [unrolled: 1-line block ×3, first 2 shown]
	v_add_co_u32 v4, vcc_lo, v13, v7
	v_add_co_ci_u32_e32 v7, vcc_lo, 0, v8, vcc_lo
	v_add_co_u32 v4, vcc_lo, v4, v9
	v_add_co_ci_u32_e32 v4, vcc_lo, v7, v10, vcc_lo
	v_add_co_ci_u32_e32 v7, vcc_lo, 0, v12, vcc_lo
	v_add_co_u32 v4, vcc_lo, v4, v11
	v_add_co_ci_u32_e32 v9, vcc_lo, 0, v7, vcc_lo
	v_mul_lo_u32 v10, s19, v4
	v_mad_u64_u32 v[7:8], null, s18, v4, 0
	v_mul_lo_u32 v11, s18, v9
	v_sub_co_u32 v7, vcc_lo, v5, v7
	v_add3_u32 v8, v8, v11, v10
	v_sub_nc_u32_e32 v10, v6, v8
	v_subrev_co_ci_u32_e64 v10, s0, s19, v10, vcc_lo
	v_add_co_u32 v11, s0, v4, 2
	v_add_co_ci_u32_e64 v12, s0, 0, v9, s0
	v_sub_co_u32 v13, s0, v7, s18
	v_sub_co_ci_u32_e32 v8, vcc_lo, v6, v8, vcc_lo
	v_subrev_co_ci_u32_e64 v10, s0, 0, v10, s0
	v_cmp_le_u32_e32 vcc_lo, s18, v13
	v_cmp_eq_u32_e64 s0, s19, v8
	v_cndmask_b32_e64 v13, 0, -1, vcc_lo
	v_cmp_le_u32_e32 vcc_lo, s19, v10
	v_cndmask_b32_e64 v14, 0, -1, vcc_lo
	v_cmp_le_u32_e32 vcc_lo, s18, v7
	;; [unrolled: 2-line block ×3, first 2 shown]
	v_cndmask_b32_e64 v15, 0, -1, vcc_lo
	v_cmp_eq_u32_e32 vcc_lo, s19, v10
	v_cndmask_b32_e64 v7, v15, v7, s0
	v_cndmask_b32_e32 v10, v14, v13, vcc_lo
	v_add_co_u32 v13, vcc_lo, v4, 1
	v_add_co_ci_u32_e32 v14, vcc_lo, 0, v9, vcc_lo
	v_cmp_ne_u32_e32 vcc_lo, 0, v10
	v_cndmask_b32_e32 v8, v14, v12, vcc_lo
	v_cndmask_b32_e32 v10, v13, v11, vcc_lo
	v_cmp_ne_u32_e32 vcc_lo, 0, v7
	v_cndmask_b32_e32 v8, v9, v8, vcc_lo
	v_cndmask_b32_e32 v7, v4, v10, vcc_lo
.LBB0_4:                                ;   in Loop: Header=BB0_2 Depth=1
	s_andn2_saveexec_b32 s0, s1
	s_cbranch_execz .LBB0_6
; %bb.5:                                ;   in Loop: Header=BB0_2 Depth=1
	v_cvt_f32_u32_e32 v4, s18
	s_sub_i32 s1, 0, s18
	v_rcp_iflag_f32_e32 v4, v4
	v_mul_f32_e32 v4, 0x4f7ffffe, v4
	v_cvt_u32_f32_e32 v4, v4
	v_mul_lo_u32 v7, s1, v4
	v_mul_hi_u32 v7, v4, v7
	v_add_nc_u32_e32 v4, v4, v7
	v_mul_hi_u32 v4, v5, v4
	v_mul_lo_u32 v7, v4, s18
	v_add_nc_u32_e32 v8, 1, v4
	v_sub_nc_u32_e32 v7, v5, v7
	v_subrev_nc_u32_e32 v9, s18, v7
	v_cmp_le_u32_e32 vcc_lo, s18, v7
	v_cndmask_b32_e32 v7, v7, v9, vcc_lo
	v_cndmask_b32_e32 v4, v4, v8, vcc_lo
	v_cmp_le_u32_e32 vcc_lo, s18, v7
	v_add_nc_u32_e32 v8, 1, v4
	v_cndmask_b32_e32 v7, v4, v8, vcc_lo
	v_mov_b32_e32 v8, v3
.LBB0_6:                                ;   in Loop: Header=BB0_2 Depth=1
	s_or_b32 exec_lo, exec_lo, s0
	s_load_dwordx2 s[0:1], s[6:7], 0x0
	v_mul_lo_u32 v4, v8, s18
	v_mul_lo_u32 v11, v7, s19
	v_mad_u64_u32 v[9:10], null, v7, s18, 0
	s_add_u32 s16, s16, 1
	s_addc_u32 s17, s17, 0
	s_add_u32 s6, s6, 8
	s_addc_u32 s7, s7, 0
	;; [unrolled: 2-line block ×3, first 2 shown]
	v_add3_u32 v4, v10, v11, v4
	v_sub_co_u32 v5, vcc_lo, v5, v9
	v_sub_co_ci_u32_e32 v4, vcc_lo, v6, v4, vcc_lo
	s_waitcnt lgkmcnt(0)
	v_mul_lo_u32 v6, s1, v5
	v_mul_lo_u32 v4, s0, v4
	v_mad_u64_u32 v[1:2], null, s0, v5, v[1:2]
	v_cmp_ge_u64_e64 s0, s[16:17], s[10:11]
	s_and_b32 vcc_lo, exec_lo, s0
	v_add3_u32 v2, v6, v2, v4
	s_cbranch_vccnz .LBB0_9
; %bb.7:                                ;   in Loop: Header=BB0_2 Depth=1
	v_mov_b32_e32 v5, v7
	v_mov_b32_e32 v6, v8
	s_branch .LBB0_2
.LBB0_8:
	v_mov_b32_e32 v8, v6
	v_mov_b32_e32 v7, v5
.LBB0_9:
	s_lshl_b64 s[0:1], s[10:11], 3
	v_mul_hi_u32 v3, 0x3030304, v0
	s_add_u32 s0, s12, s0
	s_addc_u32 s1, s13, s1
	s_load_dwordx2 s[0:1], s[0:1], 0x0
	s_load_dwordx2 s[4:5], s[4:5], 0x20
	v_mul_u32_u24_e32 v3, 0x55, v3
	v_sub_nc_u32_e32 v0, v0, v3
	s_waitcnt lgkmcnt(0)
	v_mul_lo_u32 v4, s0, v8
	v_mul_lo_u32 v5, s1, v7
	v_mad_u64_u32 v[1:2], null, s0, v7, v[1:2]
	v_cmp_gt_u64_e32 vcc_lo, s[4:5], v[7:8]
	v_cmp_le_u64_e64 s0, s[4:5], v[7:8]
	v_add3_u32 v2, v5, v2, v4
	v_add_nc_u32_e32 v4, 0x55, v0
	s_and_saveexec_b32 s1, s0
	s_xor_b32 s0, exec_lo, s1
; %bb.10:
	v_add_nc_u32_e32 v4, 0x55, v0
; %bb.11:
	s_or_saveexec_b32 s1, s0
	v_lshlrev_b64 v[65:66], 2, v[1:2]
	v_lshl_add_u32 v22, v0, 2, 0
	s_xor_b32 exec_lo, exec_lo, s1
	s_cbranch_execz .LBB0_13
; %bb.12:
	v_mov_b32_e32 v1, 0
	v_add_nc_u32_e32 v15, 0x600, v22
	v_add_nc_u32_e32 v16, 0x800, v22
	v_lshlrev_b64 v[5:6], 2, v[0:1]
	v_add_co_u32 v1, s0, s2, v65
	v_add_co_ci_u32_e64 v7, s0, s3, v66, s0
	v_add_co_u32 v5, s0, v1, v5
	v_add_co_ci_u32_e64 v6, s0, v7, v6, s0
	v_add_co_u32 v7, s0, 0x800, v5
	v_add_co_ci_u32_e64 v8, s0, 0, v6, s0
	s_clause 0x9
	global_load_dword v1, v[5:6], off
	global_load_dword v9, v[5:6], off offset:340
	global_load_dword v10, v[5:6], off offset:680
	;; [unrolled: 1-line block ×9, first 2 shown]
	v_add_nc_u32_e32 v8, 0x400, v22
	s_waitcnt vmcnt(8)
	ds_write2_b32 v22, v1, v9 offset1:85
	s_waitcnt vmcnt(6)
	ds_write2_b32 v22, v10, v11 offset0:170 offset1:255
	s_waitcnt vmcnt(4)
	ds_write2_b32 v8, v12, v13 offset0:84 offset1:169
	;; [unrolled: 2-line block ×4, first 2 shown]
.LBB0_13:
	s_or_b32 exec_lo, exec_lo, s1
	v_add_nc_u32_e32 v24, 0x400, v22
	v_add_nc_u32_e32 v16, 0x600, v22
	;; [unrolled: 1-line block ×3, first 2 shown]
	s_waitcnt lgkmcnt(0)
	s_barrier
	buffer_gl0_inv
	ds_read2_b32 v[5:6], v22 offset1:85
	ds_read2_b32 v[7:8], v22 offset0:170 offset1:255
	ds_read2_b32 v[9:10], v24 offset0:84 offset1:169
	;; [unrolled: 1-line block ×4, first 2 shown]
	v_mad_u32_u24 v1, v0, 36, v22
	s_waitcnt lgkmcnt(0)
	s_barrier
	buffer_gl0_inv
	v_cmp_gt_u32_e64 s0, 50, v0
	v_lshrrev_b32_e32 v18, 16, v5
	v_pk_add_f16 v17, v5, v7
	v_sub_f16_e32 v25, v7, v9
	v_add_f16_e32 v19, v9, v11
	v_add_f16_e32 v26, v7, v13
	v_sub_f16_sdwa v21, v9, v11 dst_sel:DWORD dst_unused:UNUSED_PAD src0_sel:WORD_1 src1_sel:WORD_1
	v_sub_f16_e32 v23, v13, v11
	v_sub_f16_e32 v27, v11, v13
	;; [unrolled: 1-line block ×3, first 2 shown]
	v_fma_f16 v19, -0.5, v19, v5
	v_fma_f16 v5, -0.5, v26, v5
	v_sub_f16_sdwa v20, v7, v13 dst_sel:DWORD dst_unused:UNUSED_PAD src0_sel:WORD_1 src1_sel:WORD_1
	v_add_f16_sdwa v29, v9, v11 dst_sel:DWORD dst_unused:UNUSED_PAD src0_sel:WORD_1 src1_sel:WORD_1
	v_add_f16_e32 v23, v25, v23
	v_add_f16_e32 v25, v28, v27
	v_fmamk_f16 v27, v21, 0x3b9c, v5
	v_fmac_f16_e32 v5, 0xbb9c, v21
	v_pk_add_f16 v17, v17, v9
	v_sub_f16_e32 v30, v7, v13
	v_fmamk_f16 v26, v20, 0xbb9c, v19
	v_fmac_f16_e32 v19, 0x3b9c, v20
	v_fma_f16 v28, -0.5, v29, v18
	v_fmac_f16_e32 v27, 0xb8b4, v20
	v_fmac_f16_e32 v5, 0x38b4, v20
	v_add_f16_sdwa v20, v7, v13 dst_sel:DWORD dst_unused:UNUSED_PAD src0_sel:WORD_1 src1_sel:WORD_1
	v_sub_f16_e32 v31, v9, v11
	v_sub_f16_sdwa v32, v7, v9 dst_sel:DWORD dst_unused:UNUSED_PAD src0_sel:WORD_1 src1_sel:WORD_1
	v_sub_f16_sdwa v33, v13, v11 dst_sel:DWORD dst_unused:UNUSED_PAD src0_sel:WORD_1 src1_sel:WORD_1
	v_pk_add_f16 v17, v17, v11
	v_fmac_f16_e32 v26, 0xb8b4, v21
	v_fmac_f16_e32 v19, 0x38b4, v21
	v_fmamk_f16 v21, v30, 0x3b9c, v28
	v_fmac_f16_e32 v28, 0xbb9c, v30
	v_fmac_f16_e32 v18, -0.5, v20
	v_add_f16_e32 v20, v10, v12
	v_fmac_f16_e32 v26, 0x34f2, v23
	v_fmac_f16_e32 v19, 0x34f2, v23
	;; [unrolled: 1-line block ×3, first 2 shown]
	v_add_f16_e32 v23, v32, v33
	v_pk_add_f16 v17, v17, v13
	v_fmac_f16_e32 v28, 0xb8b4, v31
	v_sub_f16_sdwa v7, v9, v7 dst_sel:DWORD dst_unused:UNUSED_PAD src0_sel:WORD_1 src1_sel:WORD_1
	v_sub_f16_sdwa v9, v11, v13 dst_sel:DWORD dst_unused:UNUSED_PAD src0_sel:WORD_1 src1_sel:WORD_1
	v_fma_f16 v11, -0.5, v20, v6
	v_sub_f16_sdwa v13, v8, v14 dst_sel:DWORD dst_unused:UNUSED_PAD src0_sel:WORD_1 src1_sel:WORD_1
	v_fmac_f16_e32 v27, 0x34f2, v25
	v_fmac_f16_e32 v5, 0x34f2, v25
	;; [unrolled: 1-line block ×3, first 2 shown]
	v_fmamk_f16 v25, v31, 0xbb9c, v18
	v_fmac_f16_e32 v28, 0x34f2, v23
	v_add_f16_e32 v7, v7, v9
	v_fmac_f16_e32 v18, 0x3b9c, v31
	v_fmamk_f16 v9, v13, 0xbb9c, v11
	v_sub_f16_sdwa v20, v10, v12 dst_sel:DWORD dst_unused:UNUSED_PAD src0_sel:WORD_1 src1_sel:WORD_1
	v_sub_f16_e32 v23, v14, v12
	v_sub_f16_e32 v29, v8, v10
	v_fmac_f16_e32 v11, 0x3b9c, v13
	v_add_f16_e32 v31, v8, v14
	v_fmac_f16_e32 v25, 0x38b4, v30
	v_fmac_f16_e32 v18, 0xb8b4, v30
	;; [unrolled: 1-line block ×3, first 2 shown]
	v_add_f16_e32 v23, v29, v23
	v_fmac_f16_e32 v11, 0x38b4, v20
	v_fma_f16 v29, -0.5, v31, v6
	v_fmac_f16_e32 v25, 0x34f2, v7
	v_fmac_f16_e32 v18, 0x34f2, v7
	;; [unrolled: 1-line block ×4, first 2 shown]
	v_fmamk_f16 v7, v20, 0x3b9c, v29
	v_sub_f16_e32 v23, v12, v14
	v_sub_f16_e32 v30, v10, v8
	v_fmac_f16_e32 v29, 0xbb9c, v20
	v_add_f16_sdwa v20, v10, v12 dst_sel:DWORD dst_unused:UNUSED_PAD src0_sel:WORD_1 src1_sel:WORD_1
	v_lshrrev_b32_e32 v31, 16, v6
	v_fmac_f16_e32 v7, 0xb8b4, v13
	v_add_f16_e32 v23, v30, v23
	v_fmac_f16_e32 v29, 0x38b4, v13
	v_add_f16_sdwa v13, v8, v14 dst_sel:DWORD dst_unused:UNUSED_PAD src0_sel:WORD_1 src1_sel:WORD_1
	v_fma_f16 v20, -0.5, v20, v31
	v_sub_f16_e32 v30, v8, v14
	v_fmac_f16_e32 v7, 0x34f2, v23
	v_sub_f16_e32 v32, v10, v12
	v_fmac_f16_e32 v31, -0.5, v13
	v_fmac_f16_e32 v29, 0x34f2, v23
	v_fmamk_f16 v13, v30, 0x3b9c, v20
	v_sub_f16_sdwa v23, v8, v10 dst_sel:DWORD dst_unused:UNUSED_PAD src0_sel:WORD_1 src1_sel:WORD_1
	v_sub_f16_sdwa v33, v14, v12 dst_sel:DWORD dst_unused:UNUSED_PAD src0_sel:WORD_1 src1_sel:WORD_1
	v_fmamk_f16 v34, v32, 0xbb9c, v31
	v_sub_f16_sdwa v35, v10, v8 dst_sel:DWORD dst_unused:UNUSED_PAD src0_sel:WORD_1 src1_sel:WORD_1
	v_fmac_f16_e32 v13, 0x38b4, v32
	v_sub_f16_sdwa v36, v12, v14 dst_sel:DWORD dst_unused:UNUSED_PAD src0_sel:WORD_1 src1_sel:WORD_1
	v_add_f16_e32 v23, v23, v33
	v_fmac_f16_e32 v31, 0x3b9c, v32
	v_fmac_f16_e32 v20, 0xbb9c, v30
	;; [unrolled: 1-line block ×3, first 2 shown]
	v_add_f16_e32 v33, v35, v36
	v_fmac_f16_e32 v13, 0x34f2, v23
	v_fmac_f16_e32 v31, 0xb8b4, v30
	v_pk_add_f16 v6, v6, v8
	v_fmac_f16_e32 v20, 0xb8b4, v32
	v_fmac_f16_e32 v34, 0x34f2, v33
	v_mul_f16_e32 v8, 0xb8b4, v13
	v_fmac_f16_e32 v31, 0x34f2, v33
	v_pk_add_f16 v6, v6, v10
	v_fmac_f16_e32 v20, 0x34f2, v23
	v_mul_f16_e32 v10, 0xbb9c, v34
	v_fmac_f16_e32 v8, 0x3a79, v9
	v_mul_f16_e32 v9, 0x38b4, v9
	v_mul_f16_e32 v30, 0xbb9c, v31
	;; [unrolled: 1-line block ×4, first 2 shown]
	v_pk_add_f16 v6, v6, v12
	v_mul_f16_e32 v12, 0xb8b4, v20
	v_mul_f16_e32 v20, 0xba79, v20
	v_fmac_f16_e32 v9, 0x3a79, v13
	v_fmac_f16_e32 v10, 0x34f2, v7
	;; [unrolled: 1-line block ×5, first 2 shown]
	v_pk_add_f16 v6, v6, v14
	v_add_f16_e32 v14, v26, v8
	v_fmac_f16_e32 v12, 0xba79, v11
	v_fmac_f16_e32 v20, 0x38b4, v11
	v_add_f16_e32 v11, v21, v9
	v_add_f16_e32 v23, v27, v10
	;; [unrolled: 1-line block ×5, first 2 shown]
	v_pk_add_f16 v7, v17, v6
	v_sub_f16_e32 v9, v21, v9
	v_and_b32_e32 v21, 0xff, v0
	v_pack_b32_f16 v11, v14, v11
	v_pack_b32_f16 v14, v32, v29
	;; [unrolled: 1-line block ×3, first 2 shown]
	ds_write2_b32 v1, v7, v11 offset1:1
	ds_write2_b32 v1, v13, v14 offset0:2 offset1:3
	v_mul_lo_u16 v21, 0xcd, v21
	v_and_b32_e32 v7, 0xff, v4
	v_add_f16_e32 v34, v19, v12
	v_add_f16_e32 v35, v28, v20
	v_sub_f16_e32 v8, v26, v8
	v_lshrrev_b16 v21, 11, v21
	v_mul_lo_u16 v7, 0xcd, v7
	v_sub_f16_e32 v10, v27, v10
	v_sub_f16_e32 v12, v19, v12
	v_sub_f16_e32 v19, v25, v33
	v_sub_f16_e32 v5, v5, v30
	v_sub_f16_e32 v18, v18, v31
	v_sub_f16_e32 v20, v28, v20
	v_pk_add_f16 v6, v17, v6 neg_lo:[0,1] neg_hi:[0,1]
	v_pack_b32_f16 v11, v34, v35
	v_mul_lo_u16 v13, v21, 10
	v_lshrrev_b16 v29, 11, v7
	v_pack_b32_f16 v10, v10, v19
	v_pack_b32_f16 v8, v8, v9
	;; [unrolled: 1-line block ×4, first 2 shown]
	v_sub_nc_u16 v30, v0, v13
	v_mov_b32_e32 v7, 4
	ds_write2_b32 v1, v11, v6 offset0:4 offset1:5
	ds_write2_b32 v1, v8, v10 offset0:6 offset1:7
	v_mul_lo_u16 v6, v29, 10
	ds_write2_b32 v1, v5, v9 offset0:8 offset1:9
	s_waitcnt lgkmcnt(0)
	v_lshlrev_b32_sdwa v1, v7, v30 dst_sel:DWORD dst_unused:UNUSED_PAD src0_sel:DWORD src1_sel:BYTE_0
	s_barrier
	v_sub_nc_u16 v8, v4, v6
	buffer_gl0_inv
	v_lshl_add_u32 v23, v4, 2, 0
	global_load_dwordx4 v[11:14], v1, s[8:9]
	v_mov_b32_e32 v31, 0xc8
	v_lshlrev_b32_sdwa v1, v7, v8 dst_sel:DWORD dst_unused:UNUSED_PAD src0_sel:DWORD src1_sel:BYTE_0
	v_mov_b32_e32 v33, 2
	global_load_dwordx4 v[17:20], v1, s[8:9]
	v_add_nc_u32_e32 v1, 0x200, v22
	ds_read2_b32 v[9:10], v22 offset1:170
	ds_read_b32 v7, v23
	ds_read2_b32 v[5:6], v24 offset0:169 offset1:254
	ds_read2_b32 v[25:26], v15 offset0:83 offset1:168
	ds_read_b32 v32, v22 offset:3060
	v_lshlrev_b32_sdwa v8, v33, v8 dst_sel:DWORD dst_unused:UNUSED_PAD src0_sel:DWORD src1_sel:BYTE_0
	ds_read2_b32 v[27:28], v1 offset0:127 offset1:212
	v_mul_u32_u24_sdwa v1, v21, v31 dst_sel:DWORD dst_unused:UNUSED_PAD src0_sel:WORD_0 src1_sel:DWORD
	v_mul_u32_u24_sdwa v21, v29, v31 dst_sel:DWORD dst_unused:UNUSED_PAD src0_sel:WORD_0 src1_sel:DWORD
	v_lshlrev_b32_sdwa v29, v33, v30 dst_sel:DWORD dst_unused:UNUSED_PAD src0_sel:DWORD src1_sel:BYTE_0
	s_waitcnt vmcnt(0) lgkmcnt(0)
	s_barrier
	buffer_gl0_inv
	v_add3_u32 v21, 0, v21, v8
	v_add3_u32 v29, 0, v1, v29
	v_lshrrev_b32_e32 v31, 16, v10
	v_lshrrev_b32_e32 v38, 16, v9
	;; [unrolled: 1-line block ×10, first 2 shown]
	v_mul_f16_sdwa v37, v11, v31 dst_sel:DWORD dst_unused:UNUSED_PAD src0_sel:WORD_1 src1_sel:DWORD
	v_mul_f16_sdwa v39, v11, v10 dst_sel:DWORD dst_unused:UNUSED_PAD src0_sel:WORD_1 src1_sel:DWORD
	;; [unrolled: 1-line block ×8, first 2 shown]
	v_mul_f16_sdwa v49, v1, v18 dst_sel:DWORD dst_unused:UNUSED_PAD src0_sel:DWORD src1_sel:WORD_1
	v_mul_f16_sdwa v50, v5, v18 dst_sel:DWORD dst_unused:UNUSED_PAD src0_sel:DWORD src1_sel:WORD_1
	;; [unrolled: 1-line block ×4, first 2 shown]
	v_mul_f16_sdwa v46, v17, v36 dst_sel:DWORD dst_unused:UNUSED_PAD src0_sel:WORD_1 src1_sel:DWORD
	v_mul_f16_sdwa v47, v17, v27 dst_sel:DWORD dst_unused:UNUSED_PAD src0_sel:WORD_1 src1_sel:DWORD
	v_mul_f16_sdwa v53, v30, v20 dst_sel:DWORD dst_unused:UNUSED_PAD src0_sel:DWORD src1_sel:WORD_1
	v_mul_f16_sdwa v54, v32, v20 dst_sel:DWORD dst_unused:UNUSED_PAD src0_sel:DWORD src1_sel:WORD_1
	v_fmac_f16_e32 v37, v11, v10
	v_fma_f16 v10, v11, v31, -v39
	v_fmac_f16_e32 v40, v12, v28
	v_fma_f16 v11, v12, v33, -v41
	;; [unrolled: 2-line block ×8, first 2 shown]
	v_add_f16_e32 v8, v9, v37
	v_add_f16_e32 v13, v40, v44
	;; [unrolled: 1-line block ×11, first 2 shown]
	v_sub_f16_e32 v18, v10, v26
	v_sub_f16_e32 v19, v11, v12
	;; [unrolled: 1-line block ×15, first 2 shown]
	v_add_f16_e32 v58, v42, v6
	v_sub_f16_e32 v60, v46, v53
	v_sub_f16_e32 v46, v6, v1
	;; [unrolled: 1-line block ×4, first 2 shown]
	v_add_f16_e32 v40, v8, v40
	v_fma_f16 v10, -0.5, v13, v9
	v_fmac_f16_e32 v9, -0.5, v25
	v_fma_f16 v45, -0.5, v31, v38
	v_fmac_f16_e32 v38, -0.5, v36
	v_sub_f16_e32 v62, v17, v5
	v_add_f16_e32 v11, v30, v11
	v_fma_f16 v8, -0.5, v43, v7
	v_fma_f16 v43, -0.5, v59, v42
	v_sub_f16_e32 v52, v1, v5
	v_sub_f16_e32 v54, v53, v51
	;; [unrolled: 1-line block ×3, first 2 shown]
	v_add_f16_e32 v13, v41, v49
	v_fmac_f16_e32 v7, -0.5, v55
	v_fmac_f16_e32 v42, -0.5, v63
	v_add_f16_e32 v20, v14, v20
	v_add_f16_e32 v25, v27, v28
	;; [unrolled: 1-line block ×7, first 2 shown]
	v_fmamk_f16 v6, v18, 0xbb9c, v10
	v_fmamk_f16 v14, v19, 0x3b9c, v9
	;; [unrolled: 1-line block ×4, first 2 shown]
	v_fmac_f16_e32 v9, 0xbb9c, v19
	v_fmac_f16_e32 v38, 0x3b9c, v33
	v_fmac_f16_e32 v10, 0x3b9c, v18
	v_fmac_f16_e32 v45, 0xbb9c, v32
	v_add_f16_e32 v34, v46, v62
	v_add_f16_e32 v11, v11, v12
	v_fmamk_f16 v12, v50, 0xbb9c, v8
	v_fmamk_f16 v46, v60, 0x3b9c, v43
	v_sub_f16_e32 v57, v51, v53
	v_add_f16_e32 v30, v47, v54
	v_add_f16_e32 v37, v13, v51
	v_fmamk_f16 v13, v52, 0x3b9c, v7
	v_fmac_f16_e32 v7, 0xbb9c, v52
	v_fmamk_f16 v47, v61, 0xbb9c, v42
	v_fmac_f16_e32 v42, 0x3b9c, v61
	v_fmac_f16_e32 v8, 0x3b9c, v50
	v_add_f16_e32 v41, v1, v5
	v_fmac_f16_e32 v43, 0xbb9c, v60
	v_fmac_f16_e32 v6, 0xb8b4, v19
	;; [unrolled: 1-line block ×11, first 2 shown]
	v_add_f16_e32 v31, v56, v57
	v_fmac_f16_e32 v13, 0xb8b4, v50
	v_fmac_f16_e32 v7, 0x38b4, v50
	;; [unrolled: 1-line block ×4, first 2 shown]
	v_add_f16_e32 v5, v36, v48
	v_add_f16_e32 v1, v11, v26
	v_add_f16_e32 v11, v37, v53
	v_fmac_f16_e32 v8, 0x38b4, v52
	v_add_f16_e32 v48, v41, v17
	v_fmac_f16_e32 v43, 0xb8b4, v61
	v_fmac_f16_e32 v6, 0x34f2, v20
	;; [unrolled: 1-line block ×17, first 2 shown]
	v_pack_b32_f16 v17, v5, v1
	v_pack_b32_f16 v18, v11, v48
	;; [unrolled: 1-line block ×10, first 2 shown]
	ds_write2_b32 v29, v17, v19 offset1:10
	ds_write2_b32 v29, v20, v25 offset0:20 offset1:30
	ds_write_b32 v29, v26 offset:160
	ds_write2_b32 v21, v18, v27 offset1:10
	ds_write2_b32 v21, v28, v30 offset0:20 offset1:30
	ds_write_b32 v21, v31 offset:160
	s_waitcnt lgkmcnt(0)
	s_barrier
	buffer_gl0_inv
                                        ; implicit-def: $vgpr56
                                        ; implicit-def: $vgpr49
                                        ; implicit-def: $vgpr53
                                        ; implicit-def: $vgpr21
                                        ; implicit-def: $vgpr54
                                        ; implicit-def: $vgpr55
                                        ; implicit-def: $vgpr19
                                        ; implicit-def: $vgpr52
                                        ; implicit-def: $vgpr51
                                        ; implicit-def: $vgpr17
                                        ; implicit-def: $vgpr50
	s_and_saveexec_b32 s1, s0
	s_cbranch_execz .LBB0_15
; %bb.14:
	ds_read2_b32 v[5:6], v22 offset1:50
	ds_read2_b32 v[7:8], v24 offset0:144 offset1:194
	ds_read2_b32 v[16:17], v16 offset0:116 offset1:166
	;; [unrolled: 1-line block ×4, first 2 shown]
	ds_read_b32 v49, v22 offset:3200
	ds_read2_b32 v[14:15], v22 offset0:100 offset1:150
	ds_read2_b32 v[10:11], v22 offset0:200 offset1:250
	;; [unrolled: 1-line block ×3, first 2 shown]
	s_waitcnt lgkmcnt(8)
	v_lshrrev_b32_e32 v1, 16, v5
	s_waitcnt lgkmcnt(7)
	v_lshrrev_b32_e32 v42, 16, v7
	v_lshrrev_b32_e32 v43, 16, v8
	s_waitcnt lgkmcnt(6)
	v_lshrrev_b32_e32 v50, 16, v16
	;; [unrolled: 3-line block ×8, first 2 shown]
	v_lshrrev_b32_e32 v47, 16, v13
	v_mov_b32_e32 v9, v15
.LBB0_15:
	s_or_b32 exec_lo, exec_lo, s1
	s_barrier
	buffer_gl0_inv
	s_and_saveexec_b32 s1, s0
	s_cbranch_execz .LBB0_17
; %bb.16:
	v_lshlrev_b32_e32 v15, 4, v0
	v_mov_b32_e32 v25, 0
	v_add_nc_u32_e32 v24, 0xfffffce0, v15
	v_cndmask_b32_e64 v24, v24, v15, s0
	v_lshlrev_b64 v[24:25], 2, v[24:25]
	v_add_co_u32 v24, s0, s8, v24
	v_add_co_ci_u32_e64 v25, s0, s9, v25, s0
	s_clause 0x1
	global_load_dwordx4 v[57:60], v[24:25], off offset:160
	global_load_dwordx4 v[61:64], v[24:25], off offset:208
	buffer_store_dword v65, off, s[24:27], 0 ; 4-byte Folded Spill
	buffer_store_dword v66, off, s[24:27], 0 offset:4 ; 4-byte Folded Spill
	s_clause 0x1
	global_load_dwordx4 v[65:68], v[24:25], off offset:192
	global_load_dwordx4 v[69:72], v[24:25], off offset:176
	s_waitcnt vmcnt(3)
	v_mul_f16_sdwa v41, v6, v57 dst_sel:DWORD dst_unused:UNUSED_PAD src0_sel:DWORD src1_sel:WORD_1
	s_waitcnt vmcnt(2)
	v_mul_f16_sdwa v73, v49, v64 dst_sel:DWORD dst_unused:UNUSED_PAD src0_sel:DWORD src1_sel:WORD_1
	v_mul_f16_sdwa v30, v38, v59 dst_sel:DWORD dst_unused:UNUSED_PAD src0_sel:DWORD src1_sel:WORD_1
	;; [unrolled: 1-line block ×9, first 2 shown]
	s_waitcnt vmcnt(1)
	v_mul_f16_sdwa v32, v50, v66 dst_sel:DWORD dst_unused:UNUSED_PAD src0_sel:DWORD src1_sel:WORD_1
	s_waitcnt vmcnt(0)
	v_mul_f16_sdwa v87, v7, v72 dst_sel:DWORD dst_unused:UNUSED_PAD src0_sel:DWORD src1_sel:WORD_1
	v_fmac_f16_e32 v30, v9, v59
	v_fma_f16 v41, v39, v57, -v41
	v_fma_f16 v9, v56, v64, -v73
	v_mul_f16_sdwa v77, v10, v60 dst_sel:DWORD dst_unused:UNUSED_PAD src0_sel:DWORD src1_sel:WORD_1
	v_mul_f16_sdwa v24, v53, v63 dst_sel:DWORD dst_unused:UNUSED_PAD src0_sel:DWORD src1_sel:WORD_1
	;; [unrolled: 1-line block ×8, first 2 shown]
	v_fmac_f16_e32 v28, v14, v58
	v_fma_f16 v40, v40, v58, -v74
	v_fmac_f16_e32 v44, v6, v57
	v_fmac_f16_e32 v31, v10, v60
	;; [unrolled: 1-line block ×3, first 2 shown]
	v_fma_f16 v10, v53, v63, -v76
	v_fmac_f16_e32 v32, v16, v66
	v_fma_f16 v16, v42, v72, -v87
	v_add_f16_e32 v42, v41, v9
	v_sub_f16_e32 v58, v41, v9
	v_mul_f16_sdwa v25, v54, v62 dst_sel:DWORD dst_unused:UNUSED_PAD src0_sel:DWORD src1_sel:WORD_1
	v_mul_f16_sdwa v85, v13, v71 dst_sel:DWORD dst_unused:UNUSED_PAD src0_sel:DWORD src1_sel:WORD_1
	v_fma_f16 v39, v38, v59, -v75
	v_fmac_f16_e32 v24, v21, v63
	v_fma_f16 v14, v54, v62, -v78
	v_fmac_f16_e32 v36, v13, v71
	;; [unrolled: 2-line block ×3, first 2 shown]
	v_fmac_f16_e32 v35, v8, v65
	v_sub_f16_e32 v7, v44, v15
	v_add_f16_e32 v8, v40, v10
	v_add_f16_e32 v43, v44, v15
	v_mul_f16_e32 v145, 0xbbdd, v42
	v_mul_f16_e32 v160, 0xb1e1, v58
	;; [unrolled: 1-line block ×4, first 2 shown]
	v_mul_f16_sdwa v26, v55, v61 dst_sel:DWORD dst_unused:UNUSED_PAD src0_sel:DWORD src1_sel:WORD_1
	v_mul_f16_sdwa v83, v12, v70 dst_sel:DWORD dst_unused:UNUSED_PAD src0_sel:DWORD src1_sel:WORD_1
	v_fmac_f16_e32 v25, v20, v62
	v_sub_f16_e32 v6, v28, v24
	v_add_f16_e32 v114, v39, v14
	v_mul_f16_e32 v149, 0x3b76, v8
	v_fmamk_f16 v168, v43, 0xbbdd, v160
	v_fmamk_f16 v169, v43, 0xbacd, v161
	;; [unrolled: 1-line block ×3, first 2 shown]
	v_fma_f16 v160, v43, 0xbbdd, -v160
	v_fma_f16 v161, v43, 0xbacd, -v161
	;; [unrolled: 1-line block ×3, first 2 shown]
	v_fmamk_f16 v176, v7, 0x31e1, v145
	v_mul_f16_sdwa v79, v19, v61 dst_sel:DWORD dst_unused:UNUSED_PAD src0_sel:DWORD src1_sel:WORD_1
	v_mul_f16_sdwa v34, v46, v70 dst_sel:DWORD dst_unused:UNUSED_PAD src0_sel:DWORD src1_sel:WORD_1
	v_fmac_f16_e32 v26, v19, v61
	v_fma_f16 v19, v46, v70, -v83
	v_sub_f16_e32 v46, v30, v25
	v_mul_f16_e32 v153, 0xbacd, v114
	v_fmamk_f16 v177, v6, 0xb5c8, v149
	v_add_f16_e32 v23, v5, v160
	v_add_f16_e32 v160, v5, v161
	;; [unrolled: 1-line block ×5, first 2 shown]
	v_fmamk_f16 v194, v46, 0x3836, v153
	v_mul_f16_sdwa v27, v52, v68 dst_sel:DWORD dst_unused:UNUSED_PAD src0_sel:DWORD src1_sel:WORD_1
	v_mul_f16_sdwa v82, v17, v67 dst_sel:DWORD dst_unused:UNUSED_PAD src0_sel:DWORD src1_sel:WORD_1
	v_add_f16_e32 v162, v177, v162
	buffer_store_dword v2, off, s[24:27], 0 offset:8 ; 4-byte Folded Spill
	v_sub_f16_e32 v72, v40, v10
	v_mul_f16_e32 v163, 0xbbb2, v58
	v_mul_f16_e32 v165, 0xbb29, v58
	v_add_f16_e32 v162, v194, v162
	buffer_load_dword v194, off, s[24:27], 0 offset:8 ; 4-byte Folded Reload
	v_mul_f16_e32 v166, 0xb964, v58
	v_mul_f16_e32 v131, 0xbacd, v42
	v_mul_f16_e32 v112, 0xb8d2, v42
	v_mul_f16_e32 v95, 0xb461, v42
	v_mul_f16_sdwa v80, v18, v68 dst_sel:DWORD dst_unused:UNUSED_PAD src0_sel:DWORD src1_sel:WORD_1
	v_mul_f16_sdwa v81, v11, v69 dst_sel:DWORD dst_unused:UNUSED_PAD src0_sel:DWORD src1_sel:WORD_1
	;; [unrolled: 1-line block ×3, first 2 shown]
	v_fma_f16 v38, v45, v60, -v77
	v_fma_f16 v20, v55, v61, -v79
	v_fmac_f16_e32 v27, v18, v68
	v_fma_f16 v18, v51, v67, -v82
	v_add_f16_e32 v44, v28, v24
	v_sub_f16_e32 v91, v39, v14
	v_mul_f16_e32 v164, 0xbbf7, v58
	v_mul_f16_e32 v167, 0xb5c8, v58
	;; [unrolled: 1-line block ×10, first 2 shown]
	v_fmamk_f16 v171, v43, 0xb461, v163
	v_fmamk_f16 v173, v43, 0x3722, v165
	v_fmamk_f16 v174, v43, 0x39e9, v166
	v_fma_f16 v165, v43, 0x3722, -v165
	v_fmamk_f16 v179, v7, 0x3836, v131
	v_fmamk_f16 v182, v7, 0x3a62, v112
	;; [unrolled: 1-line block ×3, first 2 shown]
	v_mul_f16_sdwa v29, v51, v67 dst_sel:DWORD dst_unused:UNUSED_PAD src0_sel:DWORD src1_sel:WORD_1
	v_fmac_f16_e32 v33, v11, v69
	v_fma_f16 v11, v52, v68, -v80
	v_fma_f16 v21, v48, v69, -v81
	v_add_f16_e32 v45, v30, v25
	v_add_f16_e32 v123, v38, v20
	v_sub_f16_e32 v102, v38, v20
	v_mul_f16_e32 v76, 0xbbdd, v8
	v_mul_f16_e32 v64, 0x3722, v42
	v_mul_f16_e32 v58, 0xba62, v72
	v_mul_f16_e32 v142, 0xb836, v91
	v_mul_f16_e32 v126, 0x2de8, v114
	v_mul_f16_e32 v124, 0xbbf7, v91
	v_mul_f16_e32 v118, 0x3b76, v114
	v_mul_f16_e32 v106, 0xb5c8, v91
	v_mul_f16_e32 v98, 0x39e9, v114
	v_mul_f16_e32 v88, 0x3964, v91
	v_fmamk_f16 v172, v43, 0x2de8, v164
	v_fmamk_f16 v175, v43, 0x3b76, v167
	v_fma_f16 v163, v43, 0xb461, -v163
	v_fma_f16 v164, v43, 0x2de8, -v164
	;; [unrolled: 1-line block ×4, first 2 shown]
	v_fmamk_f16 v178, v44, 0x3b76, v140
	v_fmamk_f16 v180, v6, 0xbb29, v127
	;; [unrolled: 1-line block ×8, first 2 shown]
	v_add_f16_e32 v168, v5, v168
	v_add_f16_e32 v169, v5, v169
	;; [unrolled: 1-line block ×9, first 2 shown]
	v_fmac_f16_e32 v29, v17, v67
	v_fma_f16 v17, v47, v71, -v85
	v_sub_f16_e32 v49, v31, v26
	v_add_f16_e32 v48, v31, v26
	v_add_f16_e32 v139, v21, v11
	v_sub_f16_e32 v117, v21, v11
	v_mul_f16_e32 v67, 0xb1e1, v72
	v_mul_f16_e32 v61, 0xb8d2, v8
	;; [unrolled: 1-line block ×12, first 2 shown]
	v_fmamk_f16 v189, v6, 0x31e1, v76
	v_fmamk_f16 v191, v7, 0x3b29, v64
	;; [unrolled: 1-line block ×10, first 2 shown]
	v_add_f16_e32 v172, v5, v172
	v_add_f16_e32 v2, v5, v173
	;; [unrolled: 1-line block ×15, first 2 shown]
	v_fmac_f16_e32 v34, v12, v70
	v_fma_f16 v12, v50, v66, -v84
	v_sub_f16_e32 v51, v33, v27
	v_add_f16_e32 v50, v33, v27
	v_add_f16_e32 v146, v19, v18
	v_sub_f16_e32 v122, v19, v18
	v_mul_f16_e32 v69, 0x3bb2, v91
	v_mul_f16_e32 v65, 0xbbdd, v114
	;; [unrolled: 1-line block ×12, first 2 shown]
	v_fmamk_f16 v190, v44, 0xbbdd, v67
	v_fmamk_f16 v192, v6, 0x3a62, v61
	;; [unrolled: 1-line block ×12, first 2 shown]
	v_add_f16_e32 v181, v1, v191
	v_add_f16_e32 v180, v189, v180
	;; [unrolled: 1-line block ×10, first 2 shown]
	v_sub_f16_e32 v53, v34, v29
	v_add_f16_e32 v52, v34, v29
	v_add_f16_e32 v157, v17, v12
	v_sub_f16_e32 v134, v17, v12
	v_mul_f16_e32 v75, 0x35c8, v102
	v_mul_f16_e32 v62, 0xb461, v123
	;; [unrolled: 1-line block ×12, first 2 shown]
	v_fmamk_f16 v203, v45, 0xb461, v69
	v_fmamk_f16 v204, v46, 0xb1e1, v65
	;; [unrolled: 1-line block ×12, first 2 shown]
	v_add_f16_e32 v172, v190, v172
	v_add_f16_e32 v181, v192, v181
	;; [unrolled: 1-line block ×12, first 2 shown]
	v_sub_f16_e32 v55, v36, v32
	v_add_f16_e32 v54, v36, v32
	v_add_f16_e32 v158, v16, v13
	v_sub_f16_e32 v141, v16, v13
	v_mul_f16_e32 v70, 0xbb29, v117
	v_mul_f16_e32 v60, 0x39e9, v139
	;; [unrolled: 1-line block ×9, first 2 shown]
	v_fmamk_f16 v215, v48, 0x3b76, v75
	v_fmamk_f16 v216, v49, 0xbbb2, v62
	;; [unrolled: 1-line block ×12, first 2 shown]
	v_add_f16_e32 v172, v203, v172
	v_add_f16_e32 v181, v204, v181
	;; [unrolled: 1-line block ×12, first 2 shown]
	v_sub_f16_e32 v57, v37, v35
	v_add_f16_e32 v56, v37, v35
	v_mul_f16_e32 v77, 0xb836, v122
	v_mul_f16_e32 v63, 0x3b76, v146
	;; [unrolled: 1-line block ×10, first 2 shown]
	v_fmamk_f16 v227, v50, 0x3722, v70
	v_fmamk_f16 v228, v51, 0xb964, v60
	;; [unrolled: 1-line block ×9, first 2 shown]
	v_add_f16_e32 v172, v215, v172
	v_add_f16_e32 v181, v216, v181
	;; [unrolled: 1-line block ×12, first 2 shown]
	v_mul_f16_e32 v83, 0x3a62, v134
	v_mul_f16_e32 v66, 0x2de8, v157
	;; [unrolled: 1-line block ×6, first 2 shown]
	v_fmamk_f16 v239, v52, 0xbacd, v77
	v_fmamk_f16 v240, v53, 0x35c8, v63
	;; [unrolled: 1-line block ×10, first 2 shown]
	v_add_f16_e32 v172, v227, v172
	v_add_f16_e32 v181, v228, v181
	;; [unrolled: 1-line block ×9, first 2 shown]
	v_mul_f16_e32 v85, 0x3964, v141
	v_mul_f16_e32 v68, 0xbbf7, v134
	v_fmamk_f16 v250, v54, 0xb8d2, v83
	v_fmamk_f16 v251, v55, 0x3bf7, v66
	;; [unrolled: 1-line block ×5, first 2 shown]
	v_add_f16_e32 v172, v239, v172
	v_add_f16_e32 v181, v240, v181
	;; [unrolled: 1-line block ×10, first 2 shown]
	v_mul_f16_e32 v177, 0xbacd, v158
	v_fmamk_f16 v168, v7, 0x3964, v159
	v_add_f16_e32 v184, v250, v172
	v_add_f16_e32 v181, v251, v181
	;; [unrolled: 1-line block ×3, first 2 shown]
	v_fmamk_f16 v169, v56, 0x39e9, v85
	v_mul_f16_e32 v182, 0x2de8, v8
	v_add_f16_e32 v171, v179, v183
	v_fmamk_f16 v174, v54, 0x2de8, v68
	v_add_f16_e32 v179, v1, v168
	v_add_f16_e32 v168, v178, v180
	v_fmamk_f16 v178, v57, 0x3836, v177
	v_mul_f16_e32 v187, 0xbbf7, v72
	v_fmamk_f16 v183, v6, 0x3bf7, v182
	v_mul_f16_e32 v185, 0xb8d2, v114
	v_add_f16_e32 v169, v169, v184
	v_add_f16_e32 v184, v174, v171
	v_add_f16_e32 v171, v178, v181
	v_fmamk_f16 v178, v44, 0x2de8, v187
	v_mul_f16_e32 v181, 0xba62, v91
	v_add_f16_e32 v179, v183, v179
	v_fmamk_f16 v180, v46, 0x3a62, v185
	v_mul_f16_e32 v183, 0xbbdd, v123
	v_add_f16_e32 v3, v178, v3
	v_fmamk_f16 v178, v45, 0xb8d2, v181
	v_mul_f16_e32 v189, 0xb1e1, v102
	v_mul_f16_e32 v172, 0xb836, v141
	v_add_f16_e32 v174, v180, v179
	v_fmamk_f16 v179, v49, 0x31e1, v183
	v_mul_f16_e32 v180, 0xbacd, v139
	v_add_f16_e32 v3, v178, v3
	v_fmamk_f16 v178, v48, 0xbbdd, v189
	v_mul_f16_e32 v191, 0x3836, v117
	v_fmamk_f16 v186, v56, 0xbacd, v172
	v_add_f16_e32 v174, v179, v174
	v_fmamk_f16 v179, v51, 0xb836, v180
	v_mul_f16_e32 v188, 0xb461, v146
	v_add_f16_e32 v3, v178, v3
	v_fmamk_f16 v178, v50, 0xbacd, v191
	v_mul_f16_e32 v193, 0x3bb2, v122
	v_mul_f16_e32 v42, 0x3b76, v42
	v_add_f16_e32 v174, v179, v174
	v_fmamk_f16 v179, v53, 0xbbb2, v188
	v_mul_f16_e32 v190, 0x3722, v157
	v_add_f16_e32 v3, v178, v3
	v_fmamk_f16 v178, v52, 0xb461, v193
	v_add_f16_e32 v184, v186, v184
	v_fmamk_f16 v186, v7, 0x35c8, v42
	v_mul_f16_e32 v8, 0x39e9, v8
	v_add_f16_e32 v41, v1, v41
	s_waitcnt vmcnt(0)
	v_add_f16_e32 v28, v194, v28
	v_add_f16_e32 v179, v179, v174
	v_fmamk_f16 v192, v55, 0xbb29, v190
	v_mul_f16_e32 v174, 0x3b76, v158
	v_add_f16_e32 v3, v178, v3
	v_add_f16_e32 v178, v1, v186
	v_fmamk_f16 v186, v6, 0x3964, v8
	v_mul_f16_e32 v114, 0x3722, v114
	v_add_f16_e32 v40, v41, v40
	v_add_f16_e32 v28, v28, v30
	;; [unrolled: 1-line block ×3, first 2 shown]
	v_fmamk_f16 v192, v57, 0xb5c8, v174
	v_add_f16_e32 v41, v186, v178
	v_fmamk_f16 v178, v46, 0x3b29, v114
	v_mul_f16_e32 v123, 0x2de8, v123
	v_add_f16_e32 v30, v40, v39
	v_add_f16_e32 v28, v28, v31
	;; [unrolled: 1-line block ×3, first 2 shown]
	v_mul_f16_e32 v192, 0x3b29, v134
	v_add_f16_e32 v39, v178, v41
	v_fmamk_f16 v40, v49, 0x3bf7, v123
	v_mul_f16_e32 v41, 0xb461, v139
	v_add_f16_e32 v30, v30, v38
	v_add_f16_e32 v28, v28, v33
	v_fmamk_f16 v186, v54, 0x3722, v192
	v_add_f16_e32 v31, v40, v39
	v_fmamk_f16 v38, v51, 0x3bb2, v41
	v_mul_f16_e32 v39, 0xb8d2, v146
	v_mul_f16_e32 v33, 0x35c8, v141
	v_add_f16_e32 v21, v30, v21
	v_add_f16_e32 v28, v28, v34
	;; [unrolled: 1-line block ×4, first 2 shown]
	v_fmamk_f16 v31, v53, 0x3a62, v39
	v_mul_f16_e32 v34, 0xbacd, v157
	v_add_f16_e32 v19, v21, v19
	v_fmamk_f16 v21, v56, 0x3b76, v33
	v_add_f16_e32 v28, v28, v36
	v_add_f16_e32 v30, v31, v30
	v_fmamk_f16 v31, v55, 0x3836, v34
	v_add_f16_e32 v17, v19, v17
	v_mul_f16_e32 v19, 0xb964, v72
	v_add_f16_e32 v3, v21, v3
	v_add_f16_e32 v21, v28, v37
	;; [unrolled: 1-line block ×4, first 2 shown]
	v_fmamk_f16 v17, v44, 0x39e9, v19
	v_mul_f16_e32 v30, 0xbb29, v91
	v_add_f16_e32 v21, v21, v35
	v_mul_f16_e32 v35, 0xbbf7, v102
	v_add_f16_e32 v13, v16, v13
	v_add_f16_e32 v16, v17, v175
	v_fmamk_f16 v17, v45, 0x3722, v30
	v_add_f16_e32 v21, v21, v32
	v_fmac_f16_e32 v145, 0xb1e1, v7
	v_add_f16_e32 v12, v13, v12
	v_fmac_f16_e32 v149, 0x35c8, v6
	v_add_f16_e32 v13, v17, v16
	v_fmamk_f16 v16, v48, 0x2de8, v35
	v_mul_f16_e32 v17, 0xbbb2, v117
	v_add_f16_e32 v21, v21, v29
	v_add_f16_e32 v12, v12, v18
	v_mul_f16_e32 v18, 0xba62, v122
	v_add_f16_e32 v13, v16, v13
	v_fmamk_f16 v16, v50, 0xb461, v17
	v_add_f16_e32 v21, v21, v27
	v_add_f16_e32 v11, v12, v11
	;; [unrolled: 1-line block ×3, first 2 shown]
	v_fmac_f16_e32 v153, 0xb836, v46
	v_add_f16_e32 v12, v16, v13
	v_fmamk_f16 v13, v52, 0xb8d2, v18
	v_mul_f16_e32 v16, 0xb836, v134
	v_add_f16_e32 v21, v21, v26
	v_add_f16_e32 v11, v11, v20
	;; [unrolled: 1-line block ×4, first 2 shown]
	v_fmamk_f16 v13, v54, 0xbacd, v16
	v_add_f16_e32 v21, v21, v25
	v_add_f16_e32 v11, v11, v14
	;; [unrolled: 1-line block ×3, first 2 shown]
	v_fmac_f16_e32 v151, 0x3964, v49
	v_add_f16_e32 v12, v13, v12
	v_mul_f16_e32 v13, 0xb1e1, v141
	v_add_f16_e32 v20, v21, v24
	v_fma_f16 v21, v44, 0x3b76, -v140
	v_add_f16_e32 v10, v11, v10
	v_add_f16_e32 v14, v151, v14
	v_fmamk_f16 v11, v56, 0xbbdd, v13
	v_fmac_f16_e32 v154, 0xba62, v51
	v_add_f16_e32 v21, v21, v23
	v_fma_f16 v23, v45, 0xbacd, -v142
	v_fmac_f16_e32 v152, 0x3b29, v53
	v_add_f16_e32 v11, v11, v12
	v_add_f16_e32 v12, v20, v15
	;; [unrolled: 1-line block ×4, first 2 shown]
	v_fma_f16 v20, v48, 0x39e9, -v147
	v_fmac_f16_e32 v131, 0xb836, v7
	v_add_f16_e32 v9, v10, v9
	v_add_f16_e32 v10, v152, v14
	v_fmac_f16_e32 v127, 0x3b29, v6
	v_add_f16_e32 v14, v20, v15
	v_fma_f16 v15, v50, 0xb8d2, -v144
	v_add_f16_e32 v20, v1, v131
	v_fmac_f16_e32 v126, 0xbbf7, v46
	v_fma_f16 v21, v44, 0x3722, -v121
	v_fmac_f16_e32 v132, 0x3a62, v49
	v_add_f16_e32 v14, v15, v14
	v_fma_f16 v15, v52, 0x3722, -v150
	v_add_f16_e32 v20, v127, v20
	v_add_f16_e32 v21, v21, v160
	v_fma_f16 v23, v45, 0x2de8, -v124
	v_fmac_f16_e32 v128, 0xb5c8, v51
	v_add_f16_e32 v14, v15, v14
	v_fma_f16 v15, v54, 0xb461, -v143
	v_add_f16_e32 v20, v126, v20
	v_add_f16_e32 v21, v23, v21
	v_fma_f16 v23, v48, 0xb8d2, -v129
	v_fmac_f16_e32 v112, 0xba62, v7
	v_add_f16_e32 v14, v15, v14
	v_fma_f16 v15, v56, 0x2de8, -v148
	v_add_f16_e32 v20, v132, v20
	v_fmac_f16_e32 v110, 0x3bb2, v6
	v_fmac_f16_e32 v118, 0xb5c8, v46
	;; [unrolled: 1-line block ×3, first 2 shown]
	v_add_f16_e32 v14, v15, v14
	v_add_f16_e32 v15, v128, v20
	;; [unrolled: 1-line block ×3, first 2 shown]
	v_fma_f16 v21, v50, 0x3b76, -v125
	v_add_f16_e32 v23, v1, v112
	v_fma_f16 v24, v44, 0xb461, -v104
	v_fmac_f16_e32 v111, 0x3bf7, v51
	v_fma_f16 v25, v45, 0x3b76, -v106
	v_add_f16_e32 v20, v21, v20
	v_fma_f16 v21, v52, 0xbbdd, -v130
	v_add_f16_e32 v23, v110, v23
	v_add_f16_e32 v24, v24, v161
	v_fmac_f16_e32 v95, 0xbbb2, v7
	v_fmac_f16_e32 v94, 0x3836, v6
	v_add_f16_e32 v20, v21, v20
	v_fma_f16 v21, v54, 0x39e9, -v135
	v_add_f16_e32 v23, v118, v23
	v_fmac_f16_e32 v98, 0x3964, v46
	v_fmac_f16_e32 v96, 0xbb29, v49
	v_fma_f16 v26, v44, 0xbacd, -v87
	v_add_f16_e32 v20, v21, v20
	v_fma_f16 v21, v56, 0xb461, -v136
	v_add_f16_e32 v23, v116, v23
	v_fmac_f16_e32 v100, 0xb1e1, v51
	v_add_f16_e32 v26, v26, v43
	v_fma_f16 v27, v45, 0x39e9, -v88
	v_add_f16_e32 v20, v21, v20
	v_add_f16_e32 v21, v111, v23
	;; [unrolled: 1-line block ×3, first 2 shown]
	v_fma_f16 v24, v48, 0xbacd, -v105
	v_add_f16_e32 v25, v1, v95
	v_fmac_f16_e32 v97, 0x3bf7, v53
	v_add_f16_e32 v26, v27, v26
	v_fma_f16 v27, v48, 0x3722, -v92
	v_add_f16_e32 v23, v24, v23
	v_fma_f16 v24, v50, 0x2de8, -v107
	v_add_f16_e32 v25, v94, v25
	v_fmac_f16_e32 v82, 0xbbf7, v7
	v_fmac_f16_e32 v76, 0xb1e1, v6
	;; [unrolled: 1-line block ×3, first 2 shown]
	v_add_f16_e32 v23, v24, v23
	v_fma_f16 v24, v52, 0x39e9, -v109
	v_add_f16_e32 v25, v98, v25
	v_fma_f16 v29, v44, 0xbbdd, -v67
	v_fmac_f16_e32 v79, 0x35c8, v49
	v_fma_f16 v32, v45, 0xb461, -v69
	v_add_f16_e32 v23, v24, v23
	v_fma_f16 v24, v54, 0xbbdd, -v108
	v_add_f16_e32 v25, v96, v25
	v_add_f16_e32 v29, v29, v173
	v_fmac_f16_e32 v73, 0xbb29, v51
	v_fmac_f16_e32 v64, 0xbb29, v7
	v_add_f16_e32 v23, v24, v23
	v_fma_f16 v24, v56, 0x3722, -v115
	v_add_f16_e32 v25, v100, v25
	v_add_f16_e32 v29, v32, v29
	v_fma_f16 v32, v48, 0x3b76, -v75
	v_fmac_f16_e32 v61, 0xba62, v6
	v_add_f16_e32 v23, v24, v23
	v_add_f16_e32 v24, v97, v25
	;; [unrolled: 1-line block ×3, first 2 shown]
	v_fma_f16 v26, v50, 0xbbdd, -v90
	v_add_f16_e32 v27, v1, v82
	v_fmac_f16_e32 v65, 0x31e1, v46
	v_fmac_f16_e32 v62, 0x3bb2, v49
	;; [unrolled: 1-line block ×3, first 2 shown]
	v_add_f16_e32 v25, v26, v25
	v_fma_f16 v26, v52, 0x2de8, -v93
	v_add_f16_e32 v27, v76, v27
	v_fmac_f16_e32 v63, 0xb5c8, v53
	v_fmac_f16_e32 v66, 0xbbf7, v55
	v_mul_f16_e32 v31, 0xbbdd, v158
	v_add_f16_e32 v25, v26, v25
	v_fma_f16 v26, v54, 0x3b76, -v89
	v_add_f16_e32 v27, v71, v27
	v_fma_f16 v37, v45, 0xbbdd, -v59
	v_fmamk_f16 v36, v57, 0x31e1, v31
	v_fmac_f16_e32 v159, 0xb964, v7
	v_add_f16_e32 v25, v26, v25
	v_fma_f16 v26, v56, 0xb8d2, -v99
	v_add_f16_e32 v27, v79, v27
	v_add_f16_e32 v28, v36, v28
	v_fma_f16 v36, v44, 0xb8d2, -v58
	v_fmac_f16_e32 v182, 0xbbf7, v6
	v_add_f16_e32 v25, v26, v25
	v_add_f16_e32 v26, v73, v27
	;; [unrolled: 1-line block ×3, first 2 shown]
	v_fma_f16 v29, v50, 0x3722, -v70
	v_add_f16_e32 v32, v1, v64
	v_add_f16_e32 v36, v36, v170
	v_fmac_f16_e32 v185, 0xba62, v46
	v_fmac_f16_e32 v183, 0xb1e1, v49
	v_add_f16_e32 v27, v29, v27
	v_fma_f16 v29, v52, 0xbacd, -v77
	v_add_f16_e32 v32, v61, v32
	v_fmac_f16_e32 v42, 0xb5c8, v7
	v_fmac_f16_e32 v8, 0xb964, v6
	v_fma_f16 v19, v44, 0x39e9, -v19
	v_add_f16_e32 v27, v29, v27
	v_fma_f16 v29, v54, 0xb8d2, -v83
	v_add_f16_e32 v32, v65, v32
	v_fmac_f16_e32 v114, 0xbb29, v46
	v_add_f16_e32 v5, v19, v5
	v_fma_f16 v19, v45, 0x3722, -v30
	v_add_f16_e32 v27, v29, v27
	v_fma_f16 v29, v56, 0x39e9, -v85
	v_add_f16_e32 v32, v62, v32
	v_fmac_f16_e32 v123, 0xbbf7, v49
	v_add_f16_e32 v5, v19, v5
	v_fmac_f16_e32 v180, 0x3836, v51
	v_add_f16_e32 v27, v29, v27
	v_add_f16_e32 v29, v60, v32
	;; [unrolled: 1-line block ×3, first 2 shown]
	v_fma_f16 v36, v48, 0xb461, -v81
	v_add_f16_e32 v37, v1, v159
	v_add_f16_e32 v1, v1, v42
	;; [unrolled: 1-line block ×3, first 2 shown]
	v_fma_f16 v30, v50, 0xbacd, -v191
	v_add_f16_e32 v32, v36, v32
	v_fma_f16 v36, v50, 0x39e9, -v78
	v_add_f16_e32 v37, v182, v37
	v_add_f16_e32 v29, v66, v29
	s_clause 0x1
	buffer_load_dword v65, off, s[24:27], 0
	buffer_load_dword v66, off, s[24:27], 0 offset:4
	v_add_f16_e32 v1, v8, v1
	v_add_f16_e32 v32, v36, v32
	v_fma_f16 v36, v52, 0x3b76, -v74
	v_add_f16_e32 v37, v185, v37
	v_fma_f16 v8, v45, 0xb8d2, -v181
	v_add_f16_e32 v1, v114, v1
	v_fmac_f16_e32 v41, 0xbbb2, v51
	v_add_f16_e32 v7, v36, v32
	v_fma_f16 v32, v54, 0x2de8, -v68
	v_add_f16_e32 v36, v183, v37
	v_fma_f16 v37, v44, 0x2de8, -v187
	;; [unrolled: 2-line block ×3, first 2 shown]
	v_add_f16_e32 v6, v32, v7
	v_mul_f16_e32 v155, 0xb461, v157
	v_add_f16_e32 v32, v37, v47
	v_fmac_f16_e32 v113, 0xb964, v53
	v_fmac_f16_e32 v133, 0xb1e1, v53
	;; [unrolled: 1-line block ×3, first 2 shown]
	v_add_f16_e32 v7, v180, v36
	v_add_f16_e32 v8, v8, v32
	v_fma_f16 v32, v48, 0xbbdd, -v189
	v_fmac_f16_e32 v188, 0x3bb2, v53
	v_add_f16_e32 v1, v41, v1
	v_fmac_f16_e32 v39, 0xba62, v53
	v_mul_f16_e32 v156, 0x2de8, v158
	v_add_f16_e32 v8, v32, v8
	v_fma_f16 v32, v48, 0x2de8, -v35
	v_fmamk_f16 v241, v55, 0x3bb2, v155
	v_fmac_f16_e32 v155, 0xbbb2, v55
	v_add_f16_e32 v21, v113, v21
	v_add_f16_e32 v8, v30, v8
	;; [unrolled: 1-line block ×3, first 2 shown]
	v_fma_f16 v30, v52, 0xb461, -v193
	v_fmac_f16_e32 v119, 0xb1e1, v55
	v_add_f16_e32 v15, v133, v15
	v_fmac_f16_e32 v137, 0x3964, v55
	v_add_f16_e32 v5, v17, v5
	v_fma_f16 v17, v52, 0xb8d2, -v18
	v_fmac_f16_e32 v101, 0xb5c8, v55
	v_add_f16_e32 v26, v80, v26
	v_fmac_f16_e32 v84, 0x3a62, v55
	v_add_f16_e32 v7, v188, v7
	v_fmac_f16_e32 v190, 0x3b29, v55
	v_add_f16_e32 v8, v30, v8
	v_fma_f16 v30, v54, 0x3722, -v192
	v_add_f16_e32 v1, v39, v1
	v_fmac_f16_e32 v34, 0xb836, v55
	v_add_f16_e32 v5, v17, v5
	v_fma_f16 v16, v54, 0xbacd, -v16
	v_fmamk_f16 v252, v57, 0xbbf7, v156
	v_add_f16_e32 v2, v241, v2
	v_add_f16_e32 v10, v155, v10
	v_fmac_f16_e32 v156, 0x3bf7, v57
	v_add_f16_e32 v21, v119, v21
	v_fmac_f16_e32 v120, 0x3b29, v57
	;; [unrolled: 2-line block ×5, first 2 shown]
	v_fmac_f16_e32 v177, 0xb836, v57
	v_add_f16_e32 v7, v190, v7
	v_fma_f16 v19, v56, 0xbacd, -v172
	v_fmac_f16_e32 v174, 0x35c8, v57
	v_add_f16_e32 v8, v30, v8
	v_fma_f16 v18, v56, 0x3b76, -v33
	v_add_f16_e32 v1, v34, v1
	v_fmac_f16_e32 v31, 0xb1e1, v57
	v_add_f16_e32 v5, v16, v5
	v_fma_f16 v13, v56, 0xbbdd, -v13
	v_add_f16_e32 v2, v252, v2
	v_add_f16_e32 v10, v156, v10
	;; [unrolled: 1-line block ×3, first 2 shown]
	v_pack_b32_f16 v9, v12, v9
	v_pack_b32_f16 v11, v11, v28
	v_add_f16_e32 v15, v138, v15
	v_pack_b32_f16 v3, v3, v179
	v_pack_b32_f16 v12, v184, v171
	v_add_f16_e32 v24, v103, v24
	v_add_f16_e32 v26, v86, v26
	v_pack_b32_f16 v16, v169, v168
	v_pack_b32_f16 v17, v167, v166
	v_add_f16_e32 v29, v177, v29
	v_add_f16_e32 v6, v19, v6
	;; [unrolled: 1-line block ×4, first 2 shown]
	v_pack_b32_f16 v18, v165, v164
	v_pack_b32_f16 v19, v163, v162
	v_add_nc_u32_e32 v28, 0x400, v22
	v_add_f16_e32 v1, v31, v1
	v_add_f16_e32 v5, v13, v5
	ds_write2_b32 v22, v9, v11 offset1:50
	ds_write2_b32 v22, v3, v12 offset0:100 offset1:150
	ds_write2_b32 v22, v16, v17 offset0:200 offset1:250
	;; [unrolled: 1-line block ×3, first 2 shown]
	v_pack_b32_f16 v2, v176, v2
	v_pack_b32_f16 v3, v14, v10
	;; [unrolled: 1-line block ×3, first 2 shown]
	v_lshl_add_u32 v23, v4, 2, 0
	v_pack_b32_f16 v9, v20, v15
	v_add_nc_u32_e32 v11, 0x600, v22
	v_pack_b32_f16 v12, v25, v24
	v_pack_b32_f16 v13, v27, v26
	v_add_nc_u32_e32 v14, 0x800, v22
	v_pack_b32_f16 v6, v6, v29
	v_pack_b32_f16 v7, v8, v7
	;; [unrolled: 1-line block ×3, first 2 shown]
	ds_write2_b32 v28, v2, v3 offset0:144 offset1:194
	ds_write2_b32 v11, v9, v10 offset0:116 offset1:166
	;; [unrolled: 1-line block ×4, first 2 shown]
	ds_write_b32 v22, v1 offset:3200
.LBB0_17:
	s_or_b32 exec_lo, exec_lo, s1
	s_waitcnt vmcnt(0) lgkmcnt(0)
	s_waitcnt_vscnt null, 0x0
	s_barrier
	buffer_gl0_inv
	ds_read_b32 v5, v22
	v_lshlrev_b32_e32 v1, 2, v0
	s_add_u32 s1, s8, 0xd20
	s_addc_u32 s4, s9, 0
	s_mov_b32 s5, exec_lo
                                        ; implicit-def: $vgpr11
                                        ; implicit-def: $vgpr10
                                        ; implicit-def: $vgpr9
                                        ; implicit-def: $vgpr6_vgpr7
	v_sub_nc_u32_e32 v8, 0, v1
	v_cmpx_ne_u32_e32 0, v0
	s_xor_b32 s5, exec_lo, s5
	s_cbranch_execz .LBB0_19
; %bb.18:
	v_mov_b32_e32 v1, 0
	ds_read_b32 v3, v8 offset:3400
	v_lshlrev_b64 v[6:7], 2, v[0:1]
	v_add_co_u32 v6, s0, s1, v6
	v_add_co_ci_u32_e64 v7, s0, s4, v7, s0
	global_load_dword v2, v[6:7], off
	s_waitcnt lgkmcnt(0)
	v_pk_add_f16 v6, v5, v3 neg_lo:[0,1] neg_hi:[0,1]
	v_pk_add_f16 v3, v3, v5
	v_bfi_b32 v5, 0xffff, v6, v3
	v_bfi_b32 v3, 0xffff, v3, v6
	v_pk_mul_f16 v5, v5, 0.5 op_sel_hi:[1,0]
	v_pk_mul_f16 v7, v3, 0.5 op_sel_hi:[1,0]
	s_waitcnt vmcnt(0)
	v_pk_mul_f16 v6, v2, v5 op_sel:[1,0]
	v_pk_mul_f16 v2, v2, v5 op_sel_hi:[0,1]
	v_pk_fma_f16 v3, v3, 0.5, v6 op_sel_hi:[1,0,1]
	v_sub_f16_e32 v5, v7, v6
	v_sub_f16_sdwa v6, v6, v7 dst_sel:DWORD dst_unused:UNUSED_PAD src0_sel:WORD_1 src1_sel:WORD_1
	v_pk_add_f16 v7, v3, v2 op_sel:[0,1] op_sel_hi:[1,0]
	v_pk_add_f16 v3, v3, v2 op_sel:[0,1] op_sel_hi:[1,0] neg_lo:[0,1] neg_hi:[0,1]
	v_sub_f16_e32 v9, v6, v2
	v_sub_f16_sdwa v10, v5, v2 dst_sel:DWORD dst_unused:UNUSED_PAD src0_sel:DWORD src1_sel:WORD_1
                                        ; implicit-def: $vgpr5
	v_bfi_b32 v11, 0xffff, v7, v3
	v_mov_b32_e32 v7, v1
	v_mov_b32_e32 v6, v0
.LBB0_19:
	s_andn2_saveexec_b32 s0, s5
	s_cbranch_execz .LBB0_21
; %bb.20:
	v_mov_b32_e32 v9, 0
	s_waitcnt lgkmcnt(0)
	v_alignbit_b32 v2, s0, v5, 16
	v_mov_b32_e32 v6, 0
	v_sub_f16_sdwa v10, v5, v5 dst_sel:DWORD dst_unused:UNUSED_PAD src0_sel:DWORD src1_sel:WORD_1
	v_mov_b32_e32 v7, 0
	ds_read_u16 v1, v9 offset:1702
	v_pk_add_f16 v2, v2, v5
	v_pack_b32_f16 v11, v2, 0
	s_waitcnt lgkmcnt(0)
	v_xor_b32_e32 v1, 0x8000, v1
	ds_write_b16 v9, v1 offset:1702
.LBB0_21:
	s_or_b32 exec_lo, exec_lo, s0
	s_waitcnt lgkmcnt(0)
	v_mov_b32_e32 v5, 0
	v_lshlrev_b64 v[4:5], 2, v[4:5]
	v_add_co_u32 v4, s0, s1, v4
	v_add_co_ci_u32_e64 v5, s0, s4, v5, s0
	global_load_dword v1, v[4:5], off
	v_lshlrev_b64 v[4:5], 2, v[6:7]
	v_add_co_u32 v6, s0, s1, v4
	v_add_co_ci_u32_e64 v7, s0, s4, v5, s0
	s_clause 0x2
	global_load_dword v2, v[6:7], off offset:680
	global_load_dword v3, v[6:7], off offset:1020
	;; [unrolled: 1-line block ×3, first 2 shown]
	ds_write_b16 v8, v9 offset:3402
	ds_write_b32 v22, v11
	ds_write_b16 v8, v10 offset:3400
	ds_read_b32 v7, v23
	ds_read_b32 v9, v8 offset:3060
	s_waitcnt lgkmcnt(0)
	v_pk_add_f16 v10, v7, v9 neg_lo:[0,1] neg_hi:[0,1]
	v_pk_add_f16 v7, v7, v9
	v_bfi_b32 v9, 0xffff, v10, v7
	v_bfi_b32 v7, 0xffff, v7, v10
	v_pk_mul_f16 v9, v9, 0.5 op_sel_hi:[1,0]
	v_pk_mul_f16 v7, v7, 0.5 op_sel_hi:[1,0]
	s_waitcnt vmcnt(3)
	v_pk_fma_f16 v10, v1, v9, v7 op_sel:[1,0,0]
	v_pk_mul_f16 v11, v1, v9 op_sel_hi:[0,1]
	v_pk_fma_f16 v12, v1, v9, v7 op_sel:[1,0,0] neg_lo:[1,0,0] neg_hi:[1,0,0]
	v_pk_fma_f16 v1, v1, v9, v7 op_sel:[1,0,0] neg_lo:[0,0,1] neg_hi:[0,0,1]
	v_pk_add_f16 v7, v10, v11 op_sel:[0,1] op_sel_hi:[1,0]
	v_pk_add_f16 v9, v10, v11 op_sel:[0,1] op_sel_hi:[1,0] neg_lo:[0,1] neg_hi:[0,1]
	v_pk_add_f16 v10, v12, v11 op_sel:[0,1] op_sel_hi:[1,0] neg_lo:[0,1] neg_hi:[0,1]
	;; [unrolled: 1-line block ×3, first 2 shown]
	v_bfi_b32 v7, 0xffff, v7, v9
	v_bfi_b32 v1, 0xffff, v10, v1
	ds_write_b32 v23, v7
	ds_write_b32 v8, v1 offset:3060
	ds_read_b32 v1, v22 offset:680
	ds_read_b32 v7, v8 offset:2720
	s_waitcnt lgkmcnt(0)
	v_pk_add_f16 v9, v1, v7 neg_lo:[0,1] neg_hi:[0,1]
	v_pk_add_f16 v1, v1, v7
	v_bfi_b32 v7, 0xffff, v9, v1
	v_bfi_b32 v1, 0xffff, v1, v9
	v_pk_mul_f16 v7, v7, 0.5 op_sel_hi:[1,0]
	v_pk_mul_f16 v10, v1, 0.5 op_sel_hi:[1,0]
	s_waitcnt vmcnt(2)
	v_pk_mul_f16 v9, v2, v7 op_sel:[1,0]
	v_pk_mul_f16 v2, v2, v7 op_sel_hi:[0,1]
	v_pk_fma_f16 v1, v1, 0.5, v9 op_sel_hi:[1,0,1]
	v_sub_f16_sdwa v7, v9, v10 dst_sel:DWORD dst_unused:UNUSED_PAD src0_sel:WORD_1 src1_sel:WORD_1
	v_sub_f16_e32 v9, v10, v9
	v_pk_add_f16 v11, v1, v2 op_sel:[0,1] op_sel_hi:[1,0]
	v_pk_add_f16 v1, v1, v2 op_sel:[0,1] op_sel_hi:[1,0] neg_lo:[0,1] neg_hi:[0,1]
	v_sub_f16_e32 v7, v7, v2
	v_sub_f16_sdwa v2, v9, v2 dst_sel:DWORD dst_unused:UNUSED_PAD src0_sel:DWORD src1_sel:WORD_1
	v_bfi_b32 v1, 0xffff, v11, v1
	ds_write_b16 v8, v7 offset:2722
	ds_write_b32 v22, v1 offset:680
	ds_write_b16 v8, v2 offset:2720
	ds_read_b32 v1, v22 offset:1020
	ds_read_b32 v2, v8 offset:2380
	s_waitcnt lgkmcnt(0)
	v_pk_add_f16 v7, v1, v2 neg_lo:[0,1] neg_hi:[0,1]
	v_pk_add_f16 v1, v1, v2
	v_bfi_b32 v2, 0xffff, v7, v1
	v_bfi_b32 v1, 0xffff, v1, v7
	v_pk_mul_f16 v2, v2, 0.5 op_sel_hi:[1,0]
	v_pk_mul_f16 v1, v1, 0.5 op_sel_hi:[1,0]
	s_waitcnt vmcnt(1)
	v_pk_mul_f16 v9, v3, v2 op_sel_hi:[0,1]
	v_pk_fma_f16 v7, v3, v2, v1 op_sel:[1,0,0]
	v_pk_fma_f16 v10, v3, v2, v1 op_sel:[1,0,0] neg_lo:[1,0,0] neg_hi:[1,0,0]
	v_pk_fma_f16 v1, v3, v2, v1 op_sel:[1,0,0] neg_lo:[0,0,1] neg_hi:[0,0,1]
	v_pk_add_f16 v2, v7, v9 op_sel:[0,1] op_sel_hi:[1,0]
	v_pk_add_f16 v3, v7, v9 op_sel:[0,1] op_sel_hi:[1,0] neg_lo:[0,1] neg_hi:[0,1]
	v_pk_add_f16 v7, v10, v9 op_sel:[0,1] op_sel_hi:[1,0] neg_lo:[0,1] neg_hi:[0,1]
	;; [unrolled: 1-line block ×3, first 2 shown]
	v_bfi_b32 v2, 0xffff, v2, v3
	v_bfi_b32 v1, 0xffff, v7, v1
	ds_write_b32 v22, v2 offset:1020
	ds_write_b32 v8, v1 offset:2380
	ds_read_b32 v1, v22 offset:1360
	ds_read_b32 v2, v8 offset:2040
	s_waitcnt lgkmcnt(0)
	v_pk_add_f16 v3, v1, v2 neg_lo:[0,1] neg_hi:[0,1]
	v_pk_add_f16 v1, v1, v2
	v_bfi_b32 v2, 0xffff, v3, v1
	v_bfi_b32 v1, 0xffff, v1, v3
	v_pk_mul_f16 v2, v2, 0.5 op_sel_hi:[1,0]
	v_pk_mul_f16 v1, v1, 0.5 op_sel_hi:[1,0]
	s_waitcnt vmcnt(0)
	v_pk_mul_f16 v7, v6, v2 op_sel_hi:[0,1]
	v_pk_fma_f16 v3, v6, v2, v1 op_sel:[1,0,0]
	v_pk_fma_f16 v9, v6, v2, v1 op_sel:[1,0,0] neg_lo:[1,0,0] neg_hi:[1,0,0]
	v_pk_fma_f16 v1, v6, v2, v1 op_sel:[1,0,0] neg_lo:[0,0,1] neg_hi:[0,0,1]
	v_pk_add_f16 v2, v3, v7 op_sel:[0,1] op_sel_hi:[1,0]
	v_pk_add_f16 v3, v3, v7 op_sel:[0,1] op_sel_hi:[1,0] neg_lo:[0,1] neg_hi:[0,1]
	v_pk_add_f16 v6, v9, v7 op_sel:[0,1] op_sel_hi:[1,0] neg_lo:[0,1] neg_hi:[0,1]
	v_pk_add_f16 v1, v1, v7 op_sel:[0,1] op_sel_hi:[1,0] neg_lo:[0,1] neg_hi:[0,1]
	v_bfi_b32 v2, 0xffff, v2, v3
	v_bfi_b32 v1, 0xffff, v6, v1
	ds_write_b32 v22, v2 offset:1360
	ds_write_b32 v8, v1 offset:2040
	s_waitcnt lgkmcnt(0)
	s_barrier
	buffer_gl0_inv
	s_and_saveexec_b32 s0, vcc_lo
	s_cbranch_execz .LBB0_24
; %bb.22:
	v_add_nc_u32_e32 v1, 0x400, v22
	v_add_nc_u32_e32 v3, 0x800, v22
	;; [unrolled: 1-line block ×3, first 2 shown]
	ds_read2_b32 v[6:7], v22 offset1:85
	ds_read2_b32 v[8:9], v22 offset0:170 offset1:255
	ds_read2_b32 v[10:11], v1 offset0:84 offset1:169
	;; [unrolled: 1-line block ×3, first 2 shown]
	v_add_co_u32 v1, vcc_lo, s2, v65
	ds_read2_b32 v[14:15], v3 offset0:168 offset1:253
	v_add_co_ci_u32_e32 v2, vcc_lo, s3, v66, vcc_lo
	v_add_co_u32 v3, vcc_lo, v1, v4
	v_add_co_ci_u32_e32 v4, vcc_lo, v2, v5, vcc_lo
	v_add_co_u32 v16, vcc_lo, 0x800, v3
	s_waitcnt lgkmcnt(4)
	global_store_dword v[3:4], v6, off
	global_store_dword v[3:4], v7, off offset:340
	s_waitcnt lgkmcnt(3)
	global_store_dword v[3:4], v8, off offset:680
	global_store_dword v[3:4], v9, off offset:1020
	s_waitcnt lgkmcnt(2)
	global_store_dword v[3:4], v10, off offset:1360
	global_store_dword v[3:4], v11, off offset:1700
	v_add_co_ci_u32_e32 v17, vcc_lo, 0, v4, vcc_lo
	v_cmp_eq_u32_e32 vcc_lo, 0x54, v0
	s_waitcnt lgkmcnt(1)
	global_store_dword v[3:4], v12, off offset:2040
	global_store_dword v[16:17], v13, off offset:332
	s_waitcnt lgkmcnt(0)
	global_store_dword v[16:17], v14, off offset:672
	global_store_dword v[16:17], v15, off offset:1012
	s_and_b32 exec_lo, exec_lo, vcc_lo
	s_cbranch_execz .LBB0_24
; %bb.23:
	v_mov_b32_e32 v0, 0
	ds_read_b32 v3, v0 offset:3400
	v_add_co_u32 v0, vcc_lo, 0x800, v1
	v_add_co_ci_u32_e32 v1, vcc_lo, 0, v2, vcc_lo
	s_waitcnt lgkmcnt(0)
	global_store_dword v[0:1], v3, off offset:1352
.LBB0_24:
	s_endpgm
	.section	.rodata,"a",@progbits
	.p2align	6, 0x0
	.amdhsa_kernel fft_rtc_back_len850_factors_10_5_17_wgs_85_tpt_85_half_ip_CI_unitstride_sbrr_R2C_dirReg
		.amdhsa_group_segment_fixed_size 0
		.amdhsa_private_segment_fixed_size 16
		.amdhsa_kernarg_size 88
		.amdhsa_user_sgpr_count 6
		.amdhsa_user_sgpr_private_segment_buffer 1
		.amdhsa_user_sgpr_dispatch_ptr 0
		.amdhsa_user_sgpr_queue_ptr 0
		.amdhsa_user_sgpr_kernarg_segment_ptr 1
		.amdhsa_user_sgpr_dispatch_id 0
		.amdhsa_user_sgpr_flat_scratch_init 0
		.amdhsa_user_sgpr_private_segment_size 0
		.amdhsa_wavefront_size32 1
		.amdhsa_uses_dynamic_stack 0
		.amdhsa_system_sgpr_private_segment_wavefront_offset 1
		.amdhsa_system_sgpr_workgroup_id_x 1
		.amdhsa_system_sgpr_workgroup_id_y 0
		.amdhsa_system_sgpr_workgroup_id_z 0
		.amdhsa_system_sgpr_workgroup_info 0
		.amdhsa_system_vgpr_workitem_id 0
		.amdhsa_next_free_vgpr 256
		.amdhsa_next_free_sgpr 28
		.amdhsa_reserve_vcc 1
		.amdhsa_reserve_flat_scratch 0
		.amdhsa_float_round_mode_32 0
		.amdhsa_float_round_mode_16_64 0
		.amdhsa_float_denorm_mode_32 3
		.amdhsa_float_denorm_mode_16_64 3
		.amdhsa_dx10_clamp 1
		.amdhsa_ieee_mode 1
		.amdhsa_fp16_overflow 0
		.amdhsa_workgroup_processor_mode 1
		.amdhsa_memory_ordered 1
		.amdhsa_forward_progress 0
		.amdhsa_shared_vgpr_count 0
		.amdhsa_exception_fp_ieee_invalid_op 0
		.amdhsa_exception_fp_denorm_src 0
		.amdhsa_exception_fp_ieee_div_zero 0
		.amdhsa_exception_fp_ieee_overflow 0
		.amdhsa_exception_fp_ieee_underflow 0
		.amdhsa_exception_fp_ieee_inexact 0
		.amdhsa_exception_int_div_zero 0
	.end_amdhsa_kernel
	.text
.Lfunc_end0:
	.size	fft_rtc_back_len850_factors_10_5_17_wgs_85_tpt_85_half_ip_CI_unitstride_sbrr_R2C_dirReg, .Lfunc_end0-fft_rtc_back_len850_factors_10_5_17_wgs_85_tpt_85_half_ip_CI_unitstride_sbrr_R2C_dirReg
                                        ; -- End function
	.section	.AMDGPU.csdata,"",@progbits
; Kernel info:
; codeLenInByte = 11100
; NumSgprs: 30
; NumVgprs: 256
; ScratchSize: 16
; MemoryBound: 0
; FloatMode: 240
; IeeeMode: 1
; LDSByteSize: 0 bytes/workgroup (compile time only)
; SGPRBlocks: 3
; VGPRBlocks: 31
; NumSGPRsForWavesPerEU: 30
; NumVGPRsForWavesPerEU: 256
; Occupancy: 4
; WaveLimiterHint : 1
; COMPUTE_PGM_RSRC2:SCRATCH_EN: 1
; COMPUTE_PGM_RSRC2:USER_SGPR: 6
; COMPUTE_PGM_RSRC2:TRAP_HANDLER: 0
; COMPUTE_PGM_RSRC2:TGID_X_EN: 1
; COMPUTE_PGM_RSRC2:TGID_Y_EN: 0
; COMPUTE_PGM_RSRC2:TGID_Z_EN: 0
; COMPUTE_PGM_RSRC2:TIDIG_COMP_CNT: 0
	.text
	.p2alignl 6, 3214868480
	.fill 48, 4, 3214868480
	.type	__hip_cuid_d0ea3faa1392f09a,@object ; @__hip_cuid_d0ea3faa1392f09a
	.section	.bss,"aw",@nobits
	.globl	__hip_cuid_d0ea3faa1392f09a
__hip_cuid_d0ea3faa1392f09a:
	.byte	0                               ; 0x0
	.size	__hip_cuid_d0ea3faa1392f09a, 1

	.ident	"AMD clang version 19.0.0git (https://github.com/RadeonOpenCompute/llvm-project roc-6.4.0 25133 c7fe45cf4b819c5991fe208aaa96edf142730f1d)"
	.section	".note.GNU-stack","",@progbits
	.addrsig
	.addrsig_sym __hip_cuid_d0ea3faa1392f09a
	.amdgpu_metadata
---
amdhsa.kernels:
  - .args:
      - .actual_access:  read_only
        .address_space:  global
        .offset:         0
        .size:           8
        .value_kind:     global_buffer
      - .offset:         8
        .size:           8
        .value_kind:     by_value
      - .actual_access:  read_only
        .address_space:  global
        .offset:         16
        .size:           8
        .value_kind:     global_buffer
      - .actual_access:  read_only
        .address_space:  global
        .offset:         24
        .size:           8
        .value_kind:     global_buffer
      - .offset:         32
        .size:           8
        .value_kind:     by_value
      - .actual_access:  read_only
        .address_space:  global
        .offset:         40
        .size:           8
        .value_kind:     global_buffer
      - .actual_access:  read_only
        .address_space:  global
        .offset:         48
        .size:           8
        .value_kind:     global_buffer
      - .offset:         56
        .size:           4
        .value_kind:     by_value
      - .actual_access:  read_only
        .address_space:  global
        .offset:         64
        .size:           8
        .value_kind:     global_buffer
      - .actual_access:  read_only
        .address_space:  global
        .offset:         72
        .size:           8
        .value_kind:     global_buffer
      - .address_space:  global
        .offset:         80
        .size:           8
        .value_kind:     global_buffer
    .group_segment_fixed_size: 0
    .kernarg_segment_align: 8
    .kernarg_segment_size: 88
    .language:       OpenCL C
    .language_version:
      - 2
      - 0
    .max_flat_workgroup_size: 85
    .name:           fft_rtc_back_len850_factors_10_5_17_wgs_85_tpt_85_half_ip_CI_unitstride_sbrr_R2C_dirReg
    .private_segment_fixed_size: 16
    .sgpr_count:     30
    .sgpr_spill_count: 0
    .symbol:         fft_rtc_back_len850_factors_10_5_17_wgs_85_tpt_85_half_ip_CI_unitstride_sbrr_R2C_dirReg.kd
    .uniform_work_group_size: 1
    .uses_dynamic_stack: false
    .vgpr_count:     256
    .vgpr_spill_count: 3
    .wavefront_size: 32
    .workgroup_processor_mode: 1
amdhsa.target:   amdgcn-amd-amdhsa--gfx1030
amdhsa.version:
  - 1
  - 2
...

	.end_amdgpu_metadata
